;; amdgpu-corpus repo=ROCm/rocFFT kind=compiled arch=gfx906 opt=O3
	.text
	.amdgcn_target "amdgcn-amd-amdhsa--gfx906"
	.amdhsa_code_object_version 6
	.protected	fft_rtc_fwd_len2400_factors_4_10_10_6_wgs_240_tpt_240_halfLds_sp_ip_CI_sbrr_dirReg ; -- Begin function fft_rtc_fwd_len2400_factors_4_10_10_6_wgs_240_tpt_240_halfLds_sp_ip_CI_sbrr_dirReg
	.globl	fft_rtc_fwd_len2400_factors_4_10_10_6_wgs_240_tpt_240_halfLds_sp_ip_CI_sbrr_dirReg
	.p2align	8
	.type	fft_rtc_fwd_len2400_factors_4_10_10_6_wgs_240_tpt_240_halfLds_sp_ip_CI_sbrr_dirReg,@function
fft_rtc_fwd_len2400_factors_4_10_10_6_wgs_240_tpt_240_halfLds_sp_ip_CI_sbrr_dirReg: ; @fft_rtc_fwd_len2400_factors_4_10_10_6_wgs_240_tpt_240_halfLds_sp_ip_CI_sbrr_dirReg
; %bb.0:
	s_load_dwordx2 s[14:15], s[4:5], 0x18
	s_load_dwordx4 s[8:11], s[4:5], 0x0
	s_load_dwordx2 s[12:13], s[4:5], 0x50
	v_mul_u32_u24_e32 v1, 0x112, v0
	v_add_u32_sdwa v5, s6, v1 dst_sel:DWORD dst_unused:UNUSED_PAD src0_sel:DWORD src1_sel:WORD_1
	s_waitcnt lgkmcnt(0)
	s_load_dwordx2 s[2:3], s[14:15], 0x0
	v_cmp_lt_u64_e64 s[0:1], s[10:11], 2
	v_mov_b32_e32 v3, 0
	v_mov_b32_e32 v1, 0
	;; [unrolled: 1-line block ×3, first 2 shown]
	s_and_b64 vcc, exec, s[0:1]
	v_mov_b32_e32 v2, 0
	s_cbranch_vccnz .LBB0_8
; %bb.1:
	s_load_dwordx2 s[0:1], s[4:5], 0x10
	s_add_u32 s6, s14, 8
	s_addc_u32 s7, s15, 0
	v_mov_b32_e32 v1, 0
	v_mov_b32_e32 v2, 0
	s_waitcnt lgkmcnt(0)
	s_add_u32 s16, s0, 8
	s_addc_u32 s17, s1, 0
	s_mov_b64 s[18:19], 1
.LBB0_2:                                ; =>This Inner Loop Header: Depth=1
	s_load_dwordx2 s[20:21], s[16:17], 0x0
                                        ; implicit-def: $vgpr7_vgpr8
	s_waitcnt lgkmcnt(0)
	v_or_b32_e32 v4, s21, v6
	v_cmp_ne_u64_e32 vcc, 0, v[3:4]
	s_and_saveexec_b64 s[0:1], vcc
	s_xor_b64 s[22:23], exec, s[0:1]
	s_cbranch_execz .LBB0_4
; %bb.3:                                ;   in Loop: Header=BB0_2 Depth=1
	v_cvt_f32_u32_e32 v4, s20
	v_cvt_f32_u32_e32 v7, s21
	s_sub_u32 s0, 0, s20
	s_subb_u32 s1, 0, s21
	v_mac_f32_e32 v4, 0x4f800000, v7
	v_rcp_f32_e32 v4, v4
	v_mul_f32_e32 v4, 0x5f7ffffc, v4
	v_mul_f32_e32 v7, 0x2f800000, v4
	v_trunc_f32_e32 v7, v7
	v_mac_f32_e32 v4, 0xcf800000, v7
	v_cvt_u32_f32_e32 v7, v7
	v_cvt_u32_f32_e32 v4, v4
	v_mul_lo_u32 v8, s0, v7
	v_mul_hi_u32 v9, s0, v4
	v_mul_lo_u32 v11, s1, v4
	v_mul_lo_u32 v10, s0, v4
	v_add_u32_e32 v8, v9, v8
	v_add_u32_e32 v8, v8, v11
	v_mul_hi_u32 v9, v4, v10
	v_mul_lo_u32 v11, v4, v8
	v_mul_hi_u32 v13, v4, v8
	v_mul_hi_u32 v12, v7, v10
	v_mul_lo_u32 v10, v7, v10
	v_mul_hi_u32 v14, v7, v8
	v_add_co_u32_e32 v9, vcc, v9, v11
	v_addc_co_u32_e32 v11, vcc, 0, v13, vcc
	v_mul_lo_u32 v8, v7, v8
	v_add_co_u32_e32 v9, vcc, v9, v10
	v_addc_co_u32_e32 v9, vcc, v11, v12, vcc
	v_addc_co_u32_e32 v10, vcc, 0, v14, vcc
	v_add_co_u32_e32 v8, vcc, v9, v8
	v_addc_co_u32_e32 v9, vcc, 0, v10, vcc
	v_add_co_u32_e32 v4, vcc, v4, v8
	v_addc_co_u32_e32 v7, vcc, v7, v9, vcc
	v_mul_lo_u32 v8, s0, v7
	v_mul_hi_u32 v9, s0, v4
	v_mul_lo_u32 v10, s1, v4
	v_mul_lo_u32 v11, s0, v4
	v_add_u32_e32 v8, v9, v8
	v_add_u32_e32 v8, v8, v10
	v_mul_lo_u32 v12, v4, v8
	v_mul_hi_u32 v13, v4, v11
	v_mul_hi_u32 v14, v4, v8
	;; [unrolled: 1-line block ×3, first 2 shown]
	v_mul_lo_u32 v11, v7, v11
	v_mul_hi_u32 v9, v7, v8
	v_add_co_u32_e32 v12, vcc, v13, v12
	v_addc_co_u32_e32 v13, vcc, 0, v14, vcc
	v_mul_lo_u32 v8, v7, v8
	v_add_co_u32_e32 v11, vcc, v12, v11
	v_addc_co_u32_e32 v10, vcc, v13, v10, vcc
	v_addc_co_u32_e32 v9, vcc, 0, v9, vcc
	v_add_co_u32_e32 v8, vcc, v10, v8
	v_addc_co_u32_e32 v9, vcc, 0, v9, vcc
	v_add_co_u32_e32 v4, vcc, v4, v8
	v_addc_co_u32_e32 v9, vcc, v7, v9, vcc
	v_mad_u64_u32 v[7:8], s[0:1], v5, v9, 0
	v_mul_hi_u32 v10, v5, v4
	v_add_co_u32_e32 v11, vcc, v10, v7
	v_addc_co_u32_e32 v12, vcc, 0, v8, vcc
	v_mad_u64_u32 v[7:8], s[0:1], v6, v4, 0
	v_mad_u64_u32 v[9:10], s[0:1], v6, v9, 0
	v_add_co_u32_e32 v4, vcc, v11, v7
	v_addc_co_u32_e32 v4, vcc, v12, v8, vcc
	v_addc_co_u32_e32 v7, vcc, 0, v10, vcc
	v_add_co_u32_e32 v4, vcc, v4, v9
	v_addc_co_u32_e32 v9, vcc, 0, v7, vcc
	v_mul_lo_u32 v10, s21, v4
	v_mul_lo_u32 v11, s20, v9
	v_mad_u64_u32 v[7:8], s[0:1], s20, v4, 0
	v_add3_u32 v8, v8, v11, v10
	v_sub_u32_e32 v10, v6, v8
	v_mov_b32_e32 v11, s21
	v_sub_co_u32_e32 v7, vcc, v5, v7
	v_subb_co_u32_e64 v10, s[0:1], v10, v11, vcc
	v_subrev_co_u32_e64 v11, s[0:1], s20, v7
	v_subbrev_co_u32_e64 v10, s[0:1], 0, v10, s[0:1]
	v_cmp_le_u32_e64 s[0:1], s21, v10
	v_cndmask_b32_e64 v12, 0, -1, s[0:1]
	v_cmp_le_u32_e64 s[0:1], s20, v11
	v_cndmask_b32_e64 v11, 0, -1, s[0:1]
	v_cmp_eq_u32_e64 s[0:1], s21, v10
	v_cndmask_b32_e64 v10, v12, v11, s[0:1]
	v_add_co_u32_e64 v11, s[0:1], 2, v4
	v_addc_co_u32_e64 v12, s[0:1], 0, v9, s[0:1]
	v_add_co_u32_e64 v13, s[0:1], 1, v4
	v_addc_co_u32_e64 v14, s[0:1], 0, v9, s[0:1]
	v_subb_co_u32_e32 v8, vcc, v6, v8, vcc
	v_cmp_ne_u32_e64 s[0:1], 0, v10
	v_cmp_le_u32_e32 vcc, s21, v8
	v_cndmask_b32_e64 v10, v14, v12, s[0:1]
	v_cndmask_b32_e64 v12, 0, -1, vcc
	v_cmp_le_u32_e32 vcc, s20, v7
	v_cndmask_b32_e64 v7, 0, -1, vcc
	v_cmp_eq_u32_e32 vcc, s21, v8
	v_cndmask_b32_e32 v7, v12, v7, vcc
	v_cmp_ne_u32_e32 vcc, 0, v7
	v_cndmask_b32_e64 v7, v13, v11, s[0:1]
	v_cndmask_b32_e32 v8, v9, v10, vcc
	v_cndmask_b32_e32 v7, v4, v7, vcc
.LBB0_4:                                ;   in Loop: Header=BB0_2 Depth=1
	s_andn2_saveexec_b64 s[0:1], s[22:23]
	s_cbranch_execz .LBB0_6
; %bb.5:                                ;   in Loop: Header=BB0_2 Depth=1
	v_cvt_f32_u32_e32 v4, s20
	s_sub_i32 s22, 0, s20
	v_rcp_iflag_f32_e32 v4, v4
	v_mul_f32_e32 v4, 0x4f7ffffe, v4
	v_cvt_u32_f32_e32 v4, v4
	v_mul_lo_u32 v7, s22, v4
	v_mul_hi_u32 v7, v4, v7
	v_add_u32_e32 v4, v4, v7
	v_mul_hi_u32 v4, v5, v4
	v_mul_lo_u32 v7, v4, s20
	v_add_u32_e32 v8, 1, v4
	v_sub_u32_e32 v7, v5, v7
	v_subrev_u32_e32 v9, s20, v7
	v_cmp_le_u32_e32 vcc, s20, v7
	v_cndmask_b32_e32 v7, v7, v9, vcc
	v_cndmask_b32_e32 v4, v4, v8, vcc
	v_add_u32_e32 v8, 1, v4
	v_cmp_le_u32_e32 vcc, s20, v7
	v_cndmask_b32_e32 v7, v4, v8, vcc
	v_mov_b32_e32 v8, v3
.LBB0_6:                                ;   in Loop: Header=BB0_2 Depth=1
	s_or_b64 exec, exec, s[0:1]
	v_mul_lo_u32 v4, v8, s20
	v_mul_lo_u32 v11, v7, s21
	v_mad_u64_u32 v[9:10], s[0:1], v7, s20, 0
	s_load_dwordx2 s[0:1], s[6:7], 0x0
	s_add_u32 s18, s18, 1
	v_add3_u32 v4, v10, v11, v4
	v_sub_co_u32_e32 v5, vcc, v5, v9
	v_subb_co_u32_e32 v4, vcc, v6, v4, vcc
	s_waitcnt lgkmcnt(0)
	v_mul_lo_u32 v4, s0, v4
	v_mul_lo_u32 v6, s1, v5
	v_mad_u64_u32 v[1:2], s[0:1], s0, v5, v[1:2]
	s_addc_u32 s19, s19, 0
	s_add_u32 s6, s6, 8
	v_add3_u32 v2, v6, v2, v4
	v_mov_b32_e32 v4, s10
	v_mov_b32_e32 v5, s11
	s_addc_u32 s7, s7, 0
	v_cmp_ge_u64_e32 vcc, s[18:19], v[4:5]
	s_add_u32 s16, s16, 8
	s_addc_u32 s17, s17, 0
	s_cbranch_vccnz .LBB0_9
; %bb.7:                                ;   in Loop: Header=BB0_2 Depth=1
	v_mov_b32_e32 v5, v7
	v_mov_b32_e32 v6, v8
	s_branch .LBB0_2
.LBB0_8:
	v_mov_b32_e32 v8, v6
	v_mov_b32_e32 v7, v5
.LBB0_9:
	s_lshl_b64 s[0:1], s[10:11], 3
	s_add_u32 s0, s14, s0
	s_addc_u32 s1, s15, s1
	s_load_dwordx2 s[6:7], s[0:1], 0x0
	s_load_dwordx2 s[10:11], s[4:5], 0x20
                                        ; implicit-def: $vgpr28
	s_waitcnt lgkmcnt(0)
	v_mad_u64_u32 v[1:2], s[0:1], s6, v7, v[1:2]
	s_mov_b32 s0, 0x1111112
	v_mul_lo_u32 v3, s6, v8
	v_mul_lo_u32 v4, s7, v7
	v_mul_hi_u32 v5, v0, s0
	v_cmp_gt_u64_e32 vcc, s[10:11], v[7:8]
	v_cmp_le_u64_e64 s[0:1], s[10:11], v[7:8]
	v_add3_u32 v2, v4, v2, v3
	v_mul_u32_u24_e32 v3, 0xf0, v5
	v_sub_u32_e32 v27, v0, v3
                                        ; implicit-def: $sgpr6
	s_and_saveexec_b64 s[4:5], s[0:1]
	s_xor_b64 s[0:1], exec, s[4:5]
; %bb.10:
	v_add_u32_e32 v28, 0xf0, v27
	s_mov_b32 s6, 0
; %bb.11:
	s_or_saveexec_b64 s[4:5], s[0:1]
	v_lshlrev_b64 v[0:1], 3, v[1:2]
	v_mov_b32_e32 v16, s6
	v_mov_b32_e32 v15, s6
	v_mov_b32_e32 v20, s6
	v_mov_b32_e32 v19, s6
                                        ; implicit-def: $vgpr4
                                        ; implicit-def: $vgpr6
                                        ; implicit-def: $vgpr12
                                        ; implicit-def: $vgpr8
                                        ; implicit-def: $vgpr10
                                        ; implicit-def: $vgpr14
                                        ; implicit-def: $vgpr24
                                        ; implicit-def: $vgpr26
                                        ; implicit-def: $vgpr18
                                        ; implicit-def: $vgpr22
	s_xor_b64 exec, exec, s[4:5]
	s_cbranch_execz .LBB0_15
; %bb.12:
	v_mad_u64_u32 v[3:4], s[0:1], s2, v27, 0
	v_add_u32_e32 v8, 0x258, v27
	v_mov_b32_e32 v7, s13
	v_mov_b32_e32 v2, v4
	v_mad_u64_u32 v[4:5], s[0:1], s3, v27, v[2:3]
	v_mad_u64_u32 v[5:6], s[0:1], s2, v8, 0
	v_add_co_u32_e64 v2, s[0:1], s12, v0
	v_addc_co_u32_e64 v24, s[0:1], v7, v1, s[0:1]
	v_mad_u64_u32 v[6:7], s[0:1], s3, v8, v[6:7]
	v_add_u32_e32 v9, 0x4b0, v27
	v_mad_u64_u32 v[7:8], s[0:1], s2, v9, 0
	v_lshlrev_b64 v[3:4], 3, v[3:4]
	v_add_u32_e32 v28, 0xf0, v27
	v_add_co_u32_e64 v15, s[0:1], v2, v3
	v_addc_co_u32_e64 v16, s[0:1], v24, v4, s[0:1]
	v_lshlrev_b64 v[3:4], 3, v[5:6]
	v_mov_b32_e32 v5, v8
	v_mad_u64_u32 v[5:6], s[0:1], s3, v9, v[5:6]
	v_add_u32_e32 v6, 0x708, v27
	v_mad_u64_u32 v[9:10], s[0:1], s2, v6, 0
	v_add_co_u32_e64 v19, s[0:1], v2, v3
	v_mov_b32_e32 v8, v5
	v_mov_b32_e32 v5, v10
	v_addc_co_u32_e64 v20, s[0:1], v24, v4, s[0:1]
	v_mad_u64_u32 v[5:6], s[0:1], s3, v6, v[5:6]
	v_lshlrev_b64 v[3:4], 3, v[7:8]
	v_mad_u64_u32 v[6:7], s[0:1], s2, v28, 0
	v_add_co_u32_e64 v25, s[0:1], v2, v3
	v_mov_b32_e32 v10, v5
	v_mov_b32_e32 v5, v7
	v_addc_co_u32_e64 v26, s[0:1], v24, v4, s[0:1]
	v_lshlrev_b64 v[3:4], 3, v[9:10]
	v_mad_u64_u32 v[7:8], s[0:1], s3, v28, v[5:6]
	v_add_u32_e32 v10, 0x348, v27
	v_mad_u64_u32 v[8:9], s[0:1], s2, v10, 0
	v_add_co_u32_e64 v29, s[0:1], v2, v3
	v_mov_b32_e32 v5, v9
	v_addc_co_u32_e64 v30, s[0:1], v24, v4, s[0:1]
	v_lshlrev_b64 v[3:4], 3, v[6:7]
	v_mad_u64_u32 v[5:6], s[0:1], s3, v10, v[5:6]
	v_add_u32_e32 v10, 0x5a0, v27
	v_mad_u64_u32 v[6:7], s[0:1], s2, v10, 0
	v_add_co_u32_e64 v31, s[0:1], v2, v3
	v_mov_b32_e32 v9, v5
	v_mov_b32_e32 v5, v7
	v_addc_co_u32_e64 v32, s[0:1], v24, v4, s[0:1]
	v_lshlrev_b64 v[3:4], 3, v[8:9]
	v_mad_u64_u32 v[7:8], s[0:1], s3, v10, v[5:6]
	v_add_u32_e32 v10, 0x7f8, v27
	v_mad_u64_u32 v[8:9], s[0:1], s2, v10, 0
	v_add_co_u32_e64 v33, s[0:1], v2, v3
	v_mov_b32_e32 v5, v9
	v_addc_co_u32_e64 v34, s[0:1], v24, v4, s[0:1]
	v_lshlrev_b64 v[3:4], 3, v[6:7]
	v_mad_u64_u32 v[5:6], s[0:1], s3, v10, v[5:6]
	v_add_co_u32_e64 v35, s[0:1], v2, v3
	v_mov_b32_e32 v9, v5
	v_addc_co_u32_e64 v36, s[0:1], v24, v4, s[0:1]
	v_lshlrev_b64 v[3:4], 3, v[8:9]
                                        ; implicit-def: $vgpr23
	v_add_co_u32_e64 v37, s[0:1], v2, v3
	v_addc_co_u32_e64 v38, s[0:1], v24, v4, s[0:1]
	global_load_dwordx2 v[3:4], v[15:16], off
	global_load_dwordx2 v[5:6], v[19:20], off
	;; [unrolled: 1-line block ×8, first 2 shown]
	s_movk_i32 s0, 0x78
	v_cmp_gt_u32_e64 s[0:1], s0, v27
	v_mov_b32_e32 v19, 0
	v_mov_b32_e32 v20, 0
	;; [unrolled: 1-line block ×4, first 2 shown]
                                        ; implicit-def: $vgpr25
	s_and_saveexec_b64 s[6:7], s[0:1]
	s_cbranch_execz .LBB0_14
; %bb.13:
	v_add_u32_e32 v23, 0x1e0, v27
	v_mad_u64_u32 v[15:16], s[0:1], s2, v23, 0
	v_add_u32_e32 v29, 0x438, v27
	v_mad_u64_u32 v[19:20], s[0:1], s2, v29, 0
	s_waitcnt vmcnt(0)
	v_mad_u64_u32 v[25:26], s[0:1], s3, v23, v[16:17]
	v_add_u32_e32 v23, 0x690, v27
	v_mov_b32_e32 v16, v25
	v_mad_u64_u32 v[25:26], s[0:1], s3, v29, v[20:21]
	v_mad_u64_u32 v[29:30], s[0:1], s2, v23, 0
	v_lshlrev_b64 v[15:16], 3, v[15:16]
	v_mov_b32_e32 v20, v25
	v_add_co_u32_e64 v31, s[0:1], v2, v15
	v_addc_co_u32_e64 v32, s[0:1], v24, v16, s[0:1]
	v_lshlrev_b64 v[15:16], 3, v[19:20]
	v_mov_b32_e32 v19, v30
	v_mad_u64_u32 v[19:20], s[0:1], s3, v23, v[19:20]
	v_add_u32_e32 v20, 0x8e8, v27
	v_mad_u64_u32 v[25:26], s[0:1], s2, v20, 0
	v_add_co_u32_e64 v33, s[0:1], v2, v15
	v_mov_b32_e32 v30, v19
	v_mov_b32_e32 v19, v26
	v_addc_co_u32_e64 v34, s[0:1], v24, v16, s[0:1]
	v_mad_u64_u32 v[19:20], s[0:1], s3, v20, v[19:20]
	v_lshlrev_b64 v[15:16], 3, v[29:30]
	v_add_co_u32_e64 v29, s[0:1], v2, v15
	v_mov_b32_e32 v26, v19
	v_addc_co_u32_e64 v30, s[0:1], v24, v16, s[0:1]
	v_lshlrev_b64 v[15:16], 3, v[25:26]
	v_add_co_u32_e64 v35, s[0:1], v2, v15
	v_addc_co_u32_e64 v36, s[0:1], v24, v16, s[0:1]
	global_load_dwordx2 v[15:16], v[31:32], off
	global_load_dwordx2 v[19:20], v[33:34], off
	global_load_dwordx2 v[23:24], v[29:30], off
	global_load_dwordx2 v[25:26], v[35:36], off
.LBB0_14:
	s_or_b64 exec, exec, s[6:7]
.LBB0_15:
	s_or_b64 exec, exec, s[4:5]
	s_waitcnt vmcnt(5)
	v_sub_f32_e32 v30, v3, v11
	s_waitcnt vmcnt(4)
	v_sub_f32_e32 v11, v5, v21
	v_fma_f32 v3, v3, 2.0, -v30
	v_fma_f32 v2, v5, 2.0, -v11
	v_sub_f32_e32 v22, v6, v22
	v_sub_f32_e32 v2, v3, v2
	v_fma_f32 v29, v3, 2.0, -v2
	v_sub_f32_e32 v3, v30, v22
	v_fma_f32 v30, v30, 2.0, -v3
	s_waitcnt vmcnt(1)
	v_sub_f32_e32 v13, v7, v13
	v_lshl_add_u32 v21, v27, 4, 0
	s_waitcnt vmcnt(0)
	v_sub_f32_e32 v5, v9, v17
	ds_write2_b64 v21, v[29:30], v[2:3] offset1:1
	v_fma_f32 v3, v7, 2.0, -v13
	v_fma_f32 v2, v9, 2.0, -v5
	v_sub_f32_e32 v7, v10, v18
	v_sub_f32_e32 v2, v3, v2
	v_fma_f32 v29, v3, 2.0, -v2
	v_sub_f32_e32 v3, v13, v7
	v_fma_f32 v30, v13, 2.0, -v3
	v_lshl_add_u32 v17, v28, 4, 0
	v_sub_f32_e32 v23, v15, v23
	v_sub_f32_e32 v9, v19, v25
	ds_write2_b64 v17, v[29:30], v[2:3] offset1:1
	v_fma_f32 v15, v15, 2.0, -v23
	v_sub_f32_e32 v13, v20, v26
	v_fma_f32 v2, v19, 2.0, -v9
	s_movk_i32 s0, 0x78
	v_add_u32_e32 v18, 0x1e0, v27
	v_sub_f32_e32 v2, v15, v2
	v_sub_f32_e32 v3, v23, v13
	v_cmp_gt_u32_e64 s[0:1], s0, v27
	v_lshl_add_u32 v18, v18, 4, 0
	s_and_saveexec_b64 s[4:5], s[0:1]
	s_cbranch_execz .LBB0_17
; %bb.16:
	v_fma_f32 v26, v23, 2.0, -v3
	v_fma_f32 v25, v15, 2.0, -v2
	ds_write2_b64 v18, v[25:26], v[2:3] offset1:1
.LBB0_17:
	s_or_b64 exec, exec, s[4:5]
	v_sub_f32_e32 v12, v4, v12
	v_fma_f32 v4, v4, 2.0, -v12
	v_fma_f32 v6, v6, 2.0, -v22
	v_sub_f32_e32 v25, v4, v6
	v_fma_f32 v29, v4, 2.0, -v25
	v_sub_f32_e32 v4, v8, v14
	v_fma_f32 v6, v8, 2.0, -v4
	v_fma_f32 v7, v10, 2.0, -v7
	v_sub_f32_e32 v31, v6, v7
	v_fma_f32 v33, v6, 2.0, -v31
	v_add_f32_e32 v32, v4, v5
	v_mad_i32_i24 v6, v27, -12, v21
	v_mad_i32_i24 v7, v28, -12, v17
	v_add_f32_e32 v26, v12, v11
	v_fma_f32 v34, v4, 2.0, -v32
	v_fma_f32 v4, v20, 2.0, -v13
	s_waitcnt lgkmcnt(0)
	s_barrier
	ds_read_b32 v19, v6
	ds_read_b32 v20, v7
	v_add_u32_e32 v7, 0x780, v6
	v_fma_f32 v30, v12, 2.0, -v26
	ds_read2_b32 v[12:13], v7 offset1:240
	v_add_u32_e32 v7, 0xf00, v6
	v_sub_f32_e32 v22, v16, v24
	ds_read2_b32 v[10:11], v7 offset1:240
	v_add_u32_e32 v7, 0x1680, v6
	v_add_u32_e32 v6, 0x1e00, v6
	v_add_f32_e32 v5, v22, v9
	ds_read2_b32 v[8:9], v7 offset1:240
	ds_read2_b32 v[6:7], v6 offset1:240
	v_fma_f32 v16, v16, 2.0, -v22
	v_sub_f32_e32 v4, v16, v4
	v_mul_i32_i24_e32 v14, -12, v27
	v_mul_i32_i24_e32 v15, -12, v28
	s_waitcnt lgkmcnt(0)
	s_barrier
	ds_write2_b64 v21, v[29:30], v[25:26] offset1:1
	ds_write2_b64 v17, v[33:34], v[31:32] offset1:1
	s_and_saveexec_b64 s[4:5], s[0:1]
	s_cbranch_execz .LBB0_19
; %bb.18:
	v_fma_f32 v23, v16, 2.0, -v4
	v_fma_f32 v24, v22, 2.0, -v5
	ds_write2_b64 v18, v[23:24], v[4:5] offset1:1
.LBB0_19:
	s_or_b64 exec, exec, s[4:5]
	v_and_b32_e32 v26, 3, v27
	v_mul_u32_u24_e32 v16, 9, v26
	v_lshlrev_b32_e32 v16, 3, v16
	s_waitcnt lgkmcnt(0)
	s_barrier
	global_load_dwordx4 v[22:25], v16, s[8:9]
	global_load_dwordx4 v[29:32], v16, s[8:9] offset:16
	global_load_dwordx4 v[33:36], v16, s[8:9] offset:32
	;; [unrolled: 1-line block ×3, first 2 shown]
	global_load_dwordx2 v[41:42], v16, s[8:9] offset:64
	v_add_u32_e32 v15, v17, v15
	v_add_u32_e32 v14, v21, v14
	;; [unrolled: 1-line block ×6, first 2 shown]
	ds_read_b32 v51, v15
	ds_read_b32 v52, v14
	ds_read2_b32 v[43:44], v21 offset1:240
	ds_read2_b32 v[45:46], v17 offset1:240
	ds_read2_b32 v[47:48], v18 offset1:240
	ds_read2_b32 v[49:50], v16 offset1:240
	s_mov_b32 s1, 0x3f737871
	s_mov_b32 s7, 0xbf737871
	;; [unrolled: 1-line block ×4, first 2 shown]
	s_movk_i32 s4, 0xcd
	s_waitcnt vmcnt(0) lgkmcnt(0)
	s_barrier
	v_mul_f32_e32 v54, v43, v25
	v_mul_f32_e32 v25, v12, v25
	;; [unrolled: 1-line block ×10, first 2 shown]
	v_fma_f32 v12, v12, v24, -v54
	v_fmac_f32_e32 v25, v43, v24
	v_mul_f32_e32 v24, v50, v42
	v_fma_f32 v10, v10, v31, -v56
	v_fma_f32 v8, v8, v35, -v58
	v_mul_f32_e32 v59, v48, v38
	v_mul_f32_e32 v38, v9, v38
	v_fma_f32 v20, v20, v22, -v53
	v_mul_f32_e32 v53, v49, v40
	v_fmac_f32_e32 v23, v51, v22
	v_mul_f32_e32 v22, v6, v40
	v_mul_f32_e32 v40, v7, v42
	v_fma_f32 v13, v13, v29, -v55
	v_fmac_f32_e32 v30, v44, v29
	v_fma_f32 v7, v7, v41, -v24
	v_add_f32_e32 v24, v19, v12
	v_add_f32_e32 v29, v10, v8
	v_mul_f32_e32 v57, v46, v34
	v_mul_f32_e32 v34, v11, v34
	v_fmac_f32_e32 v32, v45, v31
	v_fma_f32 v9, v9, v37, -v59
	v_fmac_f32_e32 v38, v48, v37
	v_fma_f32 v6, v6, v39, -v53
	v_fmac_f32_e32 v22, v49, v39
	v_sub_f32_e32 v31, v12, v10
	v_sub_f32_e32 v37, v10, v12
	;; [unrolled: 1-line block ×3, first 2 shown]
	v_fma_f32 v29, -0.5, v29, v19
	v_add_f32_e32 v10, v24, v10
	v_fma_f32 v11, v11, v33, -v57
	v_fmac_f32_e32 v34, v46, v33
	v_fmac_f32_e32 v36, v47, v35
	;; [unrolled: 1-line block ×3, first 2 shown]
	v_sub_f32_e32 v33, v6, v8
	v_sub_f32_e32 v39, v8, v6
	;; [unrolled: 1-line block ×3, first 2 shown]
	v_add_f32_e32 v8, v10, v8
	v_mov_b32_e32 v10, v29
	v_add_f32_e32 v35, v12, v6
	v_sub_f32_e32 v43, v32, v36
	v_fmac_f32_e32 v29, 0xbf737871, v41
	v_fmac_f32_e32 v10, 0x3f737871, v41
	v_add_f32_e32 v31, v31, v33
	v_fmac_f32_e32 v19, -0.5, v35
	v_fmac_f32_e32 v29, 0xbf167918, v43
	v_fmac_f32_e32 v10, 0x3f167918, v43
	v_sub_f32_e32 v12, v12, v6
	v_mov_b32_e32 v24, v19
	v_add_f32_e32 v6, v8, v6
	v_fmac_f32_e32 v29, 0x3e9e377a, v31
	v_fmac_f32_e32 v10, 0x3e9e377a, v31
	v_sub_f32_e32 v8, v25, v32
	v_sub_f32_e32 v31, v22, v36
	v_fmac_f32_e32 v19, 0x3f737871, v43
	v_fmac_f32_e32 v24, 0xbf737871, v43
	v_add_f32_e32 v8, v8, v31
	v_add_f32_e32 v31, v32, v36
	v_add_f32_e32 v33, v37, v39
	v_fmac_f32_e32 v19, 0xbf167918, v41
	v_fmac_f32_e32 v24, 0x3f167918, v41
	v_fma_f32 v31, -0.5, v31, v52
	v_fmac_f32_e32 v19, 0x3e9e377a, v33
	v_fmac_f32_e32 v24, 0x3e9e377a, v33
	v_mov_b32_e32 v33, v31
	v_fmac_f32_e32 v33, 0xbf737871, v12
	v_fmac_f32_e32 v31, 0x3f737871, v12
	;; [unrolled: 1-line block ×4, first 2 shown]
	v_add_f32_e32 v35, v25, v22
	v_fmac_f32_e32 v33, 0x3e9e377a, v8
	v_fmac_f32_e32 v31, 0x3e9e377a, v8
	v_add_f32_e32 v8, v52, v25
	v_fmac_f32_e32 v52, -0.5, v35
	v_add_f32_e32 v8, v8, v32
	v_sub_f32_e32 v25, v32, v25
	v_mov_b32_e32 v32, v52
	v_add_f32_e32 v8, v8, v36
	v_fmac_f32_e32 v32, 0x3f737871, v42
	v_fmac_f32_e32 v52, 0xbf737871, v42
	v_add_f32_e32 v8, v8, v22
	v_sub_f32_e32 v22, v36, v22
	v_fmac_f32_e32 v32, 0xbf167918, v12
	v_fmac_f32_e32 v52, 0x3f167918, v12
	v_add_f32_e32 v12, v11, v9
	v_add_f32_e32 v22, v25, v22
	v_fma_f32 v12, -0.5, v12, v20
	v_sub_f32_e32 v25, v13, v11
	v_sub_f32_e32 v35, v7, v9
	v_fmac_f32_e32 v32, 0x3e9e377a, v22
	v_fmac_f32_e32 v52, 0x3e9e377a, v22
	v_sub_f32_e32 v22, v30, v40
	v_add_f32_e32 v25, v25, v35
	v_mov_b32_e32 v35, v12
	v_fmac_f32_e32 v35, 0x3f737871, v22
	v_sub_f32_e32 v36, v34, v38
	v_fmac_f32_e32 v12, 0xbf737871, v22
	v_fmac_f32_e32 v35, 0x3f167918, v36
	;; [unrolled: 1-line block ×3, first 2 shown]
	v_add_f32_e32 v37, v13, v7
	v_fmac_f32_e32 v35, 0x3e9e377a, v25
	v_fmac_f32_e32 v12, 0x3e9e377a, v25
	v_add_f32_e32 v25, v20, v13
	v_fmac_f32_e32 v20, -0.5, v37
	v_sub_f32_e32 v37, v11, v13
	v_sub_f32_e32 v39, v9, v7
	v_add_f32_e32 v37, v37, v39
	v_mov_b32_e32 v39, v20
	v_fmac_f32_e32 v39, 0xbf737871, v36
	v_fmac_f32_e32 v20, 0x3f737871, v36
	;; [unrolled: 1-line block ×4, first 2 shown]
	v_add_f32_e32 v22, v25, v11
	v_add_f32_e32 v22, v22, v9
	;; [unrolled: 1-line block ×3, first 2 shown]
	v_sub_f32_e32 v7, v13, v7
	v_sub_f32_e32 v9, v11, v9
	;; [unrolled: 1-line block ×4, first 2 shown]
	v_add_f32_e32 v11, v11, v13
	v_add_f32_e32 v13, v34, v38
	v_fma_f32 v13, -0.5, v13, v23
	v_mov_b32_e32 v25, v13
	v_fmac_f32_e32 v25, 0xbf737871, v7
	v_fmac_f32_e32 v13, 0x3f737871, v7
	;; [unrolled: 1-line block ×4, first 2 shown]
	v_add_f32_e32 v36, v30, v40
	v_fmac_f32_e32 v25, 0x3e9e377a, v11
	v_fmac_f32_e32 v13, 0x3e9e377a, v11
	v_add_f32_e32 v11, v23, v30
	v_fmac_f32_e32 v23, -0.5, v36
	v_mov_b32_e32 v36, v23
	v_add_f32_e32 v11, v11, v34
	v_sub_f32_e32 v30, v34, v30
	v_sub_f32_e32 v34, v38, v40
	v_fmac_f32_e32 v36, 0x3f737871, v9
	v_fmac_f32_e32 v39, 0x3e9e377a, v37
	;; [unrolled: 1-line block ×3, first 2 shown]
	v_add_f32_e32 v30, v30, v34
	v_fmac_f32_e32 v23, 0xbf737871, v9
	v_fmac_f32_e32 v20, 0x3e9e377a, v37
	;; [unrolled: 1-line block ×4, first 2 shown]
	v_mul_f32_e32 v37, 0xbf737871, v39
	v_fmac_f32_e32 v23, 0x3e9e377a, v30
	v_mul_f32_e32 v9, 0x3f167918, v25
	v_mul_f32_e32 v34, 0x3f737871, v36
	v_fmac_f32_e32 v37, 0x3e9e377a, v36
	v_mul_f32_e32 v36, 0x3e9e377a, v20
	v_fmac_f32_e32 v9, 0x3f4f1bbd, v35
	v_mul_f32_e32 v35, 0xbf167918, v35
	v_fma_f32 v36, v23, s1, -v36
	v_mul_f32_e32 v23, 0x3e9e377a, v23
	v_fmac_f32_e32 v34, 0x3e9e377a, v39
	v_fmac_f32_e32 v35, 0x3f4f1bbd, v25
	v_fma_f32 v20, v20, s7, -v23
	v_add_f32_e32 v11, v11, v38
	v_add_f32_e32 v25, v24, v34
	v_sub_f32_e32 v24, v24, v34
	v_add_f32_e32 v34, v33, v35
	v_add_f32_e32 v38, v52, v20
	v_sub_f32_e32 v33, v33, v35
	v_sub_f32_e32 v35, v52, v20
	v_lshrrev_b32_e32 v20, 2, v27
	v_mul_u32_u24_e32 v20, 40, v20
	v_mul_f32_e32 v23, 0x3f4f1bbd, v12
	v_or_b32_e32 v20, v20, v26
	v_add_f32_e32 v7, v6, v22
	v_add_f32_e32 v30, v10, v9
	v_fma_f32 v23, v13, s0, -v23
	v_mul_f32_e32 v13, 0x3f4f1bbd, v13
	v_sub_f32_e32 v6, v6, v22
	v_lshl_add_u32 v26, v20, 2, 0
	v_fma_f32 v12, v12, s6, -v13
	v_add_f32_e32 v13, v19, v36
	v_add_f32_e32 v22, v29, v23
	v_sub_f32_e32 v9, v10, v9
	v_sub_f32_e32 v19, v19, v36
	;; [unrolled: 1-line block ×3, first 2 shown]
	ds_write2_b32 v26, v7, v30 offset1:4
	ds_write2_b32 v26, v25, v13 offset0:8 offset1:12
	ds_write2_b32 v26, v22, v6 offset0:16 offset1:20
	;; [unrolled: 1-line block ×4, first 2 shown]
	v_mul_lo_u16_sdwa v6, v27, s4 dst_sel:DWORD dst_unused:UNUSED_PAD src0_sel:BYTE_0 src1_sel:DWORD
	v_lshrrev_b16_e32 v49, 13, v6
	v_mul_lo_u16_e32 v6, 40, v49
	v_add_f32_e32 v11, v11, v40
	v_sub_u16_e32 v50, v27, v6
	v_mov_b32_e32 v6, 9
	v_add_f32_e32 v10, v8, v11
	v_mul_u32_u24_sdwa v6, v50, v6 dst_sel:DWORD dst_unused:UNUSED_PAD src0_sel:BYTE_0 src1_sel:DWORD
	v_add_f32_e32 v36, v32, v37
	v_sub_f32_e32 v8, v8, v11
	v_add_f32_e32 v11, v31, v12
	v_sub_f32_e32 v32, v32, v37
	v_sub_f32_e32 v12, v31, v12
	s_waitcnt lgkmcnt(0)
	s_barrier
	ds_read_b32 v48, v14
	ds_read_b32 v13, v15
	ds_read2_b32 v[19:20], v21 offset1:240
	ds_read2_b32 v[29:30], v17 offset1:240
	;; [unrolled: 1-line block ×4, first 2 shown]
	s_waitcnt lgkmcnt(0)
	s_barrier
	ds_write2_b32 v26, v10, v34 offset1:4
	ds_write2_b32 v26, v36, v38 offset0:8 offset1:12
	ds_write2_b32 v26, v11, v8 offset0:16 offset1:20
	;; [unrolled: 1-line block ×4, first 2 shown]
	v_lshlrev_b32_e32 v10, 3, v6
	s_waitcnt lgkmcnt(0)
	s_barrier
	global_load_dwordx4 v[6:9], v10, s[8:9] offset:288
	global_load_dwordx4 v[23:26], v10, s[8:9] offset:304
	;; [unrolled: 1-line block ×4, first 2 shown]
	global_load_dwordx2 v[46:47], v10, s[8:9] offset:352
	ds_read_b32 v22, v15
	ds_read2_b32 v[32:33], v21 offset1:240
	ds_read_b32 v11, v14
	s_waitcnt vmcnt(4) lgkmcnt(2)
	v_mul_f32_e32 v10, v22, v7
	v_mul_f32_e32 v12, v13, v7
	v_fma_f32 v10, v13, v6, -v10
	v_fmac_f32_e32 v12, v22, v6
	s_waitcnt lgkmcnt(1)
	v_mul_f32_e32 v6, v32, v9
	v_fma_f32 v31, v19, v8, -v6
	ds_read2_b32 v[6:7], v17 offset1:240
	v_mul_f32_e32 v22, v19, v9
	v_fmac_f32_e32 v22, v32, v8
	s_waitcnt vmcnt(3)
	v_mul_f32_e32 v8, v33, v24
	v_fma_f32 v17, v20, v23, -v8
	v_mul_f32_e32 v13, v20, v24
	s_waitcnt lgkmcnt(0)
	v_mul_f32_e32 v8, v6, v26
	v_fmac_f32_e32 v13, v33, v23
	v_fma_f32 v33, v29, v25, -v8
	ds_read2_b32 v[8:9], v18 offset1:240
	v_mul_f32_e32 v24, v29, v26
	v_fmac_f32_e32 v24, v6, v25
	s_waitcnt vmcnt(2)
	v_mul_f32_e32 v6, v7, v35
	v_fma_f32 v18, v30, v34, -v6
	v_mul_f32_e32 v23, v30, v35
	s_waitcnt lgkmcnt(0)
	v_mul_f32_e32 v6, v8, v37
	v_fmac_f32_e32 v23, v7, v34
	v_fma_f32 v35, v42, v36, -v6
	ds_read2_b32 v[6:7], v16 offset1:240
	v_mul_f32_e32 v26, v42, v37
	s_waitcnt vmcnt(1)
	v_mul_f32_e32 v25, v43, v39
	v_fmac_f32_e32 v26, v8, v36
	v_mul_f32_e32 v8, v9, v39
	v_fmac_f32_e32 v25, v9, v38
	s_waitcnt lgkmcnt(0)
	v_mul_f32_e32 v9, v6, v41
	v_mul_f32_e32 v32, v44, v41
	v_fma_f32 v8, v43, v38, -v8
	v_fma_f32 v38, v44, v40, -v9
	v_fmac_f32_e32 v32, v6, v40
	s_waitcnt vmcnt(0)
	v_mul_f32_e32 v6, v7, v47
	v_fma_f32 v6, v45, v46, -v6
	v_mul_f32_e32 v29, v45, v47
	v_sub_f32_e32 v20, v31, v33
	v_sub_f32_e32 v21, v38, v35
	v_fmac_f32_e32 v29, v7, v46
	v_add_f32_e32 v20, v20, v21
	v_sub_f32_e32 v21, v17, v18
	v_sub_f32_e32 v30, v6, v8
	v_add_f32_e32 v21, v21, v30
	v_sub_f32_e32 v30, v13, v23
	v_sub_f32_e32 v34, v29, v25
	v_add_f32_e32 v43, v30, v34
	v_mov_b32_e32 v30, 2
	v_lshlrev_b32_sdwa v30, v30, v50 dst_sel:DWORD dst_unused:UNUSED_PAD src0_sel:DWORD src1_sel:BYTE_0
	v_mul_u32_u24_e32 v34, 0x640, v49
	v_add3_u32 v30, 0, v34, v30
	v_add_f32_e32 v34, v10, v17
	v_add_f32_e32 v34, v34, v18
	;; [unrolled: 1-line block ×6, first 2 shown]
	v_fma_f32 v36, -0.5, v36, v12
	v_add_f32_e32 v9, v33, v35
	v_fma_f32 v34, -0.5, v34, v10
	v_sub_f32_e32 v49, v17, v6
	v_mov_b32_e32 v39, v36
	v_fma_f32 v9, -0.5, v9, v48
	v_sub_f32_e32 v46, v13, v29
	v_mov_b32_e32 v37, v34
	v_fmac_f32_e32 v39, 0xbf737871, v49
	v_sub_f32_e32 v50, v18, v8
	v_add_f32_e32 v7, v48, v31
	v_sub_f32_e32 v16, v22, v32
	v_mov_b32_e32 v19, v9
	v_fmac_f32_e32 v37, 0x3f737871, v46
	v_sub_f32_e32 v47, v23, v25
	v_fmac_f32_e32 v39, 0xbf167918, v50
	v_add_f32_e32 v7, v7, v33
	v_fmac_f32_e32 v19, 0x3f737871, v16
	v_sub_f32_e32 v44, v24, v26
	v_fmac_f32_e32 v37, 0x3f167918, v47
	v_fmac_f32_e32 v39, 0x3e9e377a, v43
	v_add_f32_e32 v7, v7, v35
	v_fmac_f32_e32 v19, 0x3f167918, v44
	v_fmac_f32_e32 v37, 0x3e9e377a, v21
	v_mul_f32_e32 v51, 0x3f167918, v39
	v_add_f32_e32 v7, v7, v38
	v_fmac_f32_e32 v19, 0x3e9e377a, v20
	v_fmac_f32_e32 v51, 0x3f4f1bbd, v37
	v_add_f32_e32 v40, v7, v45
	v_add_f32_e32 v41, v19, v51
	s_barrier
	ds_write2_b32 v30, v40, v41 offset1:40
	v_add_f32_e32 v40, v31, v38
	v_fmac_f32_e32 v48, -0.5, v40
	v_mov_b32_e32 v52, v48
	v_sub_f32_e32 v40, v33, v31
	v_sub_f32_e32 v41, v35, v38
	v_fmac_f32_e32 v52, 0xbf737871, v44
	v_fmac_f32_e32 v48, 0x3f737871, v44
	v_add_f32_e32 v40, v40, v41
	v_fmac_f32_e32 v52, 0x3f167918, v16
	v_fmac_f32_e32 v48, 0xbf167918, v16
	;; [unrolled: 1-line block ×4, first 2 shown]
	v_add_f32_e32 v40, v17, v6
	v_fmac_f32_e32 v10, -0.5, v40
	v_mov_b32_e32 v40, v10
	v_sub_f32_e32 v17, v18, v17
	v_sub_f32_e32 v6, v8, v6
	v_fmac_f32_e32 v40, 0xbf737871, v47
	v_fmac_f32_e32 v10, 0x3f737871, v47
	v_add_f32_e32 v6, v17, v6
	v_fmac_f32_e32 v40, 0x3f167918, v46
	v_fmac_f32_e32 v10, 0xbf167918, v46
	;; [unrolled: 1-line block ×4, first 2 shown]
	v_sub_f32_e32 v6, v23, v13
	v_sub_f32_e32 v8, v25, v29
	v_add_f32_e32 v6, v6, v8
	v_add_f32_e32 v8, v13, v29
	v_fma_f32 v41, -0.5, v8, v12
	v_mov_b32_e32 v42, v41
	v_fmac_f32_e32 v42, 0x3f737871, v50
	v_fmac_f32_e32 v41, 0xbf737871, v50
	;; [unrolled: 1-line block ×7, first 2 shown]
	v_mul_f32_e32 v6, 0x3e9e377a, v10
	v_fmac_f32_e32 v34, 0xbf167918, v47
	v_fmac_f32_e32 v36, 0x3f737871, v49
	v_mul_f32_e32 v8, 0x3f737871, v42
	v_fma_f32 v17, v41, s1, -v6
	v_fmac_f32_e32 v9, 0xbf737871, v16
	v_fmac_f32_e32 v34, 0x3e9e377a, v21
	;; [unrolled: 1-line block ×4, first 2 shown]
	v_add_f32_e32 v18, v48, v17
	v_fmac_f32_e32 v9, 0xbf167918, v44
	v_fmac_f32_e32 v36, 0x3e9e377a, v43
	v_sub_f32_e32 v16, v7, v45
	v_sub_f32_e32 v7, v48, v17
	v_mul_f32_e32 v17, 0x3f4f1bbd, v34
	v_add_f32_e32 v6, v52, v8
	v_fmac_f32_e32 v9, 0x3e9e377a, v20
	v_fma_f32 v17, v36, s0, -v17
	ds_write2_b32 v30, v6, v18 offset0:80 offset1:120
	v_sub_f32_e32 v6, v19, v51
	v_sub_f32_e32 v8, v52, v8
	v_add_f32_e32 v18, v9, v17
	v_sub_f32_e32 v9, v9, v17
	v_add_u32_e32 v43, 0x200, v30
	v_add_u32_e32 v44, 0x400, v30
	ds_write2_b32 v30, v18, v16 offset0:160 offset1:200
	ds_write2_b32 v43, v6, v8 offset0:112 offset1:152
	;; [unrolled: 1-line block ×3, first 2 shown]
	s_waitcnt lgkmcnt(0)
	s_barrier
	ds_read_b32 v16, v14
	ds_read_b32 v17, v14 offset:1600
	ds_read_b32 v20, v14 offset:3200
	;; [unrolled: 1-line block ×5, first 2 shown]
	s_movk_i32 s0, 0xa0
	v_cmp_gt_u32_e64 s[0:1], s0, v27
	s_and_saveexec_b64 s[4:5], s[0:1]
	s_cbranch_execz .LBB0_21
; %bb.20:
	ds_read_b32 v8, v14 offset:2560
	ds_read_b32 v7, v14 offset:4160
	;; [unrolled: 1-line block ×4, first 2 shown]
	ds_read_b32 v6, v15
	ds_read_b32 v3, v14 offset:8960
.LBB0_21:
	s_or_b64 exec, exec, s[4:5]
	v_add_f32_e32 v46, v24, v26
	v_fma_f32 v46, -0.5, v46, v11
	v_sub_f32_e32 v31, v31, v38
	v_mov_b32_e32 v38, v46
	v_fmac_f32_e32 v38, 0xbf737871, v31
	v_sub_f32_e32 v33, v33, v35
	v_sub_f32_e32 v35, v22, v24
	;; [unrolled: 1-line block ×3, first 2 shown]
	v_fmac_f32_e32 v46, 0x3f737871, v31
	v_fmac_f32_e32 v38, 0xbf167918, v33
	v_add_f32_e32 v35, v35, v47
	v_fmac_f32_e32 v46, 0x3f167918, v33
	v_fmac_f32_e32 v38, 0x3e9e377a, v35
	;; [unrolled: 1-line block ×3, first 2 shown]
	v_add_f32_e32 v35, v22, v32
	v_add_f32_e32 v45, v11, v22
	v_fmac_f32_e32 v11, -0.5, v35
	v_mov_b32_e32 v35, v11
	v_add_f32_e32 v12, v12, v13
	v_add_f32_e32 v45, v45, v24
	v_fmac_f32_e32 v35, 0x3f737871, v33
	v_sub_f32_e32 v22, v24, v22
	v_sub_f32_e32 v24, v26, v32
	v_fmac_f32_e32 v11, 0xbf737871, v33
	v_add_f32_e32 v12, v12, v23
	v_add_f32_e32 v45, v45, v26
	v_fmac_f32_e32 v35, 0xbf167918, v31
	v_add_f32_e32 v22, v22, v24
	v_fmac_f32_e32 v11, 0x3f167918, v31
	v_add_f32_e32 v12, v12, v25
	v_mul_f32_e32 v13, 0xbf167918, v37
	v_mul_f32_e32 v24, 0xbf737871, v40
	;; [unrolled: 1-line block ×3, first 2 shown]
	v_add_f32_e32 v45, v45, v32
	v_fmac_f32_e32 v35, 0x3e9e377a, v22
	v_fmac_f32_e32 v11, 0x3e9e377a, v22
	v_add_f32_e32 v12, v12, v29
	v_fmac_f32_e32 v13, 0x3f4f1bbd, v39
	v_fmac_f32_e32 v24, 0x3e9e377a, v42
	v_fma_f32 v26, v10, s7, -v26
	v_mul_f32_e32 v10, 0x3f4f1bbd, v36
	v_add_f32_e32 v22, v45, v12
	v_add_f32_e32 v23, v38, v13
	;; [unrolled: 1-line block ×4, first 2 shown]
	v_fma_f32 v31, v34, s6, -v10
	v_add_f32_e32 v32, v46, v31
	v_sub_f32_e32 v33, v45, v12
	v_sub_f32_e32 v10, v38, v13
	;; [unrolled: 1-line block ×5, first 2 shown]
	s_waitcnt lgkmcnt(0)
	s_barrier
	ds_write2_b32 v30, v22, v23 offset1:40
	ds_write2_b32 v30, v25, v29 offset0:80 offset1:120
	ds_write2_b32 v30, v32, v33 offset0:160 offset1:200
	;; [unrolled: 1-line block ×4, first 2 shown]
	s_waitcnt lgkmcnt(0)
	s_barrier
	ds_read_b32 v22, v14
	ds_read_b32 v23, v14 offset:1600
	ds_read_b32 v26, v14 offset:3200
	;; [unrolled: 1-line block ×5, first 2 shown]
	s_and_saveexec_b64 s[4:5], s[0:1]
	s_cbranch_execz .LBB0_23
; %bb.22:
	ds_read_b32 v13, v14 offset:2560
	ds_read_b32 v12, v14 offset:4160
	;; [unrolled: 1-line block ×4, first 2 shown]
	ds_read_b32 v10, v15
	ds_read_b32 v5, v14 offset:8960
.LBB0_23:
	s_or_b64 exec, exec, s[4:5]
	s_and_saveexec_b64 s[4:5], vcc
	s_cbranch_execz .LBB0_26
; %bb.24:
	v_mul_u32_u24_e32 v14, 5, v27
	v_lshlrev_b32_e32 v38, 3, v14
	global_load_dwordx4 v[30:33], v38, s[8:9] offset:3168
	global_load_dwordx4 v[34:37], v38, s[8:9] offset:3184
	global_load_dwordx2 v[14:15], v38, s[8:9] offset:3200
	v_mad_u64_u32 v[38:39], s[4:5], s2, v27, 0
	v_mov_b32_e32 v41, s13
	v_add_u32_e32 v42, 0x190, v27
	v_mad_u64_u32 v[39:40], s[4:5], s3, v27, v[39:40]
	v_add_co_u32_e32 v0, vcc, s12, v0
	v_addc_co_u32_e32 v1, vcc, v41, v1, vcc
	v_mad_u64_u32 v[40:41], s[4:5], s2, v42, 0
	s_waitcnt vmcnt(2) lgkmcnt(4)
	v_mul_f32_e32 v45, v23, v31
	s_waitcnt vmcnt(1) lgkmcnt(2)
	v_mul_f32_e32 v46, v24, v35
	;; [unrolled: 2-line block ×3, first 2 shown]
	v_mul_f32_e32 v35, v18, v35
	v_mul_f32_e32 v15, v19, v15
	v_fma_f32 v18, v18, v34, -v46
	v_fma_f32 v19, v19, v14, -v47
	v_mul_f32_e32 v43, v26, v33
	v_mul_f32_e32 v44, v29, v37
	;; [unrolled: 1-line block ×5, first 2 shown]
	v_fma_f32 v17, v17, v30, -v45
	v_fmac_f32_e32 v35, v24, v34
	v_fmac_f32_e32 v15, v25, v14
	v_add_f32_e32 v24, v18, v19
	v_fma_f32 v20, v20, v32, -v43
	v_fma_f32 v21, v21, v36, -v44
	v_fmac_f32_e32 v33, v26, v32
	v_fmac_f32_e32 v37, v29, v36
	;; [unrolled: 1-line block ×3, first 2 shown]
	v_sub_f32_e32 v26, v18, v19
	v_add_f32_e32 v29, v35, v15
	v_add_f32_e32 v18, v17, v18
	v_fma_f32 v24, -0.5, v24, v17
	v_sub_f32_e32 v23, v20, v21
	v_add_f32_e32 v14, v33, v37
	v_sub_f32_e32 v25, v35, v15
	v_add_f32_e32 v34, v20, v21
	v_add_f32_e32 v20, v16, v20
	v_fma_f32 v29, -0.5, v29, v31
	v_add_f32_e32 v18, v18, v19
	v_mov_b32_e32 v19, v24
	v_add_f32_e32 v30, v22, v33
	v_add_f32_e32 v32, v31, v35
	v_fma_f32 v22, -0.5, v14, v22
	v_fma_f32 v31, -0.5, v34, v16
	v_add_f32_e32 v16, v20, v21
	v_mov_b32_e32 v20, v29
	v_fmac_f32_e32 v24, 0x3f5db3d7, v25
	v_fmac_f32_e32 v19, 0xbf5db3d7, v25
	v_sub_f32_e32 v33, v33, v37
	v_add_f32_e32 v17, v30, v37
	v_add_f32_e32 v30, v32, v15
	v_mov_b32_e32 v32, v22
	v_fmac_f32_e32 v29, 0xbf5db3d7, v26
	v_mov_b32_e32 v34, v31
	v_fmac_f32_e32 v20, 0x3f5db3d7, v26
	v_mul_f32_e32 v21, 0xbf5db3d7, v24
	v_mul_f32_e32 v26, -0.5, v19
	v_fmac_f32_e32 v22, 0xbf5db3d7, v23
	v_fmac_f32_e32 v32, 0x3f5db3d7, v23
	v_fmac_f32_e32 v34, 0xbf5db3d7, v33
	v_mul_f32_e32 v23, 0x3f5db3d7, v29
	v_mul_f32_e32 v25, -0.5, v20
	v_fmac_f32_e32 v21, 0.5, v29
	v_fmac_f32_e32 v26, 0x3f5db3d7, v20
	v_fmac_f32_e32 v31, 0x3f5db3d7, v33
	v_fmac_f32_e32 v23, 0.5, v24
	v_fmac_f32_e32 v25, 0xbf5db3d7, v19
	v_sub_f32_e32 v19, v22, v21
	v_add_f32_e32 v21, v22, v21
	v_sub_f32_e32 v22, v34, v26
	v_add_f32_e32 v24, v34, v26
	v_mov_b32_e32 v26, v41
	v_sub_f32_e32 v14, v16, v18
	v_add_f32_e32 v16, v16, v18
	v_sub_f32_e32 v18, v31, v23
	v_add_f32_e32 v20, v31, v23
	v_sub_f32_e32 v23, v32, v25
	v_add_f32_e32 v25, v32, v25
	v_mad_u64_u32 v[31:32], s[4:5], s3, v42, v[26:27]
	v_sub_f32_e32 v15, v17, v30
	v_add_f32_e32 v17, v17, v30
	v_lshlrev_b64 v[29:30], 3, v[38:39]
	v_mov_b32_e32 v41, v31
	v_add_co_u32_e32 v29, vcc, v0, v29
	v_addc_co_u32_e32 v30, vcc, v1, v30, vcc
	v_add_u32_e32 v31, 0x320, v27
	global_store_dwordx2 v[29:30], v[16:17], off
	v_mad_u64_u32 v[29:30], s[4:5], s2, v31, 0
	v_lshlrev_b64 v[16:17], 3, v[40:41]
	v_mov_b32_e32 v26, v30
	v_mad_u64_u32 v[30:31], s[4:5], s3, v31, v[26:27]
	v_add_u32_e32 v26, 0x4b0, v27
	v_mad_u64_u32 v[31:32], s[4:5], s2, v26, 0
	v_add_co_u32_e32 v16, vcc, v0, v16
	v_addc_co_u32_e32 v17, vcc, v1, v17, vcc
	global_store_dwordx2 v[16:17], v[20:21], off
	v_lshlrev_b64 v[16:17], 3, v[29:30]
	v_mov_b32_e32 v20, v32
	v_mad_u64_u32 v[20:21], s[4:5], s3, v26, v[20:21]
	v_add_co_u32_e32 v16, vcc, v0, v16
	v_addc_co_u32_e32 v17, vcc, v1, v17, vcc
	global_store_dwordx2 v[16:17], v[24:25], off
	v_add_u32_e32 v24, 0x640, v27
	v_mov_b32_e32 v32, v20
	v_mad_u64_u32 v[20:21], s[4:5], s2, v24, 0
	v_add_u32_e32 v29, 0x7d0, v27
	v_lshlrev_b64 v[16:17], 3, v[31:32]
	v_mad_u64_u32 v[24:25], s[4:5], s3, v24, v[21:22]
	v_mad_u64_u32 v[25:26], s[4:5], s2, v29, 0
	v_add_co_u32_e32 v16, vcc, v0, v16
	v_addc_co_u32_e32 v17, vcc, v1, v17, vcc
	global_store_dwordx2 v[16:17], v[14:15], off
	v_mov_b32_e32 v16, v26
	v_mov_b32_e32 v21, v24
	v_mad_u64_u32 v[16:17], s[4:5], s3, v29, v[16:17]
	v_lshlrev_b64 v[14:15], 3, v[20:21]
	v_add_co_u32_e32 v14, vcc, v0, v14
	v_addc_co_u32_e32 v15, vcc, v1, v15, vcc
	v_mov_b32_e32 v26, v16
	global_store_dwordx2 v[14:15], v[18:19], off
	v_lshlrev_b64 v[14:15], 3, v[25:26]
	v_add_co_u32_e32 v14, vcc, v0, v14
	v_addc_co_u32_e32 v15, vcc, v1, v15, vcc
	global_store_dwordx2 v[14:15], v[22:23], off
	s_and_b64 exec, exec, s[0:1]
	s_cbranch_execz .LBB0_26
; %bb.25:
	v_add_u32_e32 v14, 0xffffff60, v27
	v_cndmask_b32_e64 v14, v14, v28, s[0:1]
	v_mul_i32_i24_e32 v14, 5, v14
	v_mov_b32_e32 v15, 0
	v_lshlrev_b64 v[14:15], 3, v[14:15]
	v_mov_b32_e32 v16, s9
	v_add_co_u32_e32 v22, vcc, s8, v14
	v_addc_co_u32_e32 v23, vcc, v16, v15, vcc
	global_load_dwordx4 v[14:17], v[22:23], off offset:3168
	global_load_dwordx4 v[18:21], v[22:23], off offset:3184
	global_load_dwordx2 v[24:25], v[22:23], off offset:3200
	v_add_u32_e32 v26, 0xf0, v27
	v_mad_u64_u32 v[22:23], s[0:1], s2, v26, 0
	s_waitcnt vmcnt(2)
	v_mul_f32_e32 v31, v12, v17
	v_mul_f32_e32 v17, v7, v17
	s_waitcnt vmcnt(0)
	v_mad_u64_u32 v[28:29], s[0:1], s3, v26, v[23:24]
	v_mul_f32_e32 v32, v11, v19
	v_mul_f32_e32 v19, v9, v19
	v_mov_b32_e32 v23, v28
	v_mul_f32_e32 v28, v13, v15
	v_mul_f32_e32 v15, v8, v15
	;; [unrolled: 1-line block ×6, first 2 shown]
	v_fmac_f32_e32 v15, v13, v14
	v_fmac_f32_e32 v17, v12, v16
	v_fma_f32 v9, v9, v18, -v32
	v_fmac_f32_e32 v19, v11, v18
	v_fmac_f32_e32 v21, v4, v20
	v_fma_f32 v3, v3, v24, -v34
	v_fmac_f32_e32 v25, v5, v24
	v_add_u32_e32 v26, 0x280, v27
	v_fma_f32 v8, v8, v14, -v28
	v_fma_f32 v7, v7, v16, -v31
	v_sub_f32_e32 v11, v17, v21
	v_add_f32_e32 v12, v10, v17
	v_add_f32_e32 v13, v17, v21
	;; [unrolled: 1-line block ×3, first 2 shown]
	v_sub_f32_e32 v17, v19, v25
	v_add_f32_e32 v18, v15, v19
	v_add_f32_e32 v19, v19, v25
	v_mad_u64_u32 v[29:30], s[0:1], s2, v26, 0
	v_fma_f32 v2, v2, v20, -v33
	v_add_f32_e32 v14, v8, v9
	v_fmac_f32_e32 v8, -0.5, v16
	v_fmac_f32_e32 v15, -0.5, v19
	v_add_f32_e32 v5, v7, v2
	v_sub_f32_e32 v9, v9, v3
	v_fmac_f32_e32 v10, -0.5, v13
	v_add_f32_e32 v13, v18, v25
	v_mov_b32_e32 v18, v8
	v_fmac_f32_e32 v8, 0xbf5db3d7, v17
	v_mov_b32_e32 v19, v15
	v_add_f32_e32 v4, v6, v7
	v_fmac_f32_e32 v6, -0.5, v5
	v_fmac_f32_e32 v15, 0x3f5db3d7, v9
	v_fmac_f32_e32 v19, 0xbf5db3d7, v9
	v_mul_f32_e32 v9, -0.5, v8
	v_sub_f32_e32 v7, v7, v2
	v_add_f32_e32 v5, v12, v21
	v_add_f32_e32 v12, v14, v3
	v_mov_b32_e32 v14, v6
	v_fmac_f32_e32 v6, 0xbf5db3d7, v11
	v_mov_b32_e32 v16, v10
	v_fmac_f32_e32 v18, 0x3f5db3d7, v17
	v_fmac_f32_e32 v9, 0x3f5db3d7, v15
	;; [unrolled: 1-line block ×3, first 2 shown]
	v_add_f32_e32 v3, v5, v13
	v_sub_f32_e32 v5, v5, v13
	v_fmac_f32_e32 v14, 0x3f5db3d7, v11
	v_fmac_f32_e32 v16, 0xbf5db3d7, v7
	v_mul_f32_e32 v11, -0.5, v15
	v_mul_f32_e32 v13, 0x3f5db3d7, v19
	v_mul_f32_e32 v15, 0xbf5db3d7, v18
	v_add_f32_e32 v7, v6, v9
	v_sub_f32_e32 v9, v6, v9
	v_mov_b32_e32 v6, v30
	v_add_f32_e32 v4, v4, v2
	v_fmac_f32_e32 v11, 0xbf5db3d7, v8
	v_fmac_f32_e32 v13, 0.5, v18
	v_fmac_f32_e32 v15, 0.5, v19
	v_mad_u64_u32 v[17:18], s[0:1], s3, v26, v[6:7]
	v_add_f32_e32 v2, v4, v12
	v_sub_f32_e32 v4, v4, v12
	v_add_f32_e32 v8, v10, v11
	v_sub_f32_e32 v10, v10, v11
	v_add_f32_e32 v11, v14, v13
	v_add_f32_e32 v12, v16, v15
	v_sub_f32_e32 v13, v14, v13
	v_sub_f32_e32 v14, v16, v15
	v_lshlrev_b64 v[15:16], 3, v[22:23]
	v_mov_b32_e32 v30, v17
	v_add_co_u32_e32 v15, vcc, v0, v15
	v_addc_co_u32_e32 v16, vcc, v1, v16, vcc
	v_add_u32_e32 v17, 0x410, v27
	global_store_dwordx2 v[15:16], v[2:3], off
	v_mad_u64_u32 v[15:16], s[0:1], s2, v17, 0
	v_lshlrev_b64 v[2:3], 3, v[29:30]
	v_add_u32_e32 v19, 0x5a0, v27
	v_mov_b32_e32 v6, v16
	v_mad_u64_u32 v[16:17], s[0:1], s3, v17, v[6:7]
	v_add_co_u32_e32 v2, vcc, v0, v2
	v_addc_co_u32_e32 v3, vcc, v1, v3, vcc
	v_mad_u64_u32 v[17:18], s[0:1], s2, v19, 0
	global_store_dwordx2 v[2:3], v[11:12], off
	v_lshlrev_b64 v[2:3], 3, v[15:16]
	v_mov_b32_e32 v6, v18
	v_add_co_u32_e32 v2, vcc, v0, v2
	v_addc_co_u32_e32 v3, vcc, v1, v3, vcc
	global_store_dwordx2 v[2:3], v[7:8], off
	v_add_u32_e32 v8, 0x730, v27
	v_mad_u64_u32 v[11:12], s[0:1], s3, v19, v[6:7]
	v_mad_u64_u32 v[6:7], s[0:1], s2, v8, 0
	v_mov_b32_e32 v18, v11
	v_lshlrev_b64 v[2:3], 3, v[17:18]
	v_mad_u64_u32 v[7:8], s[0:1], s3, v8, v[7:8]
	v_add_u32_e32 v8, 0x8c0, v27
	v_mad_u64_u32 v[11:12], s[0:1], s2, v8, 0
	v_add_co_u32_e32 v2, vcc, v0, v2
	v_addc_co_u32_e32 v3, vcc, v1, v3, vcc
	global_store_dwordx2 v[2:3], v[4:5], off
	v_mov_b32_e32 v4, v12
	v_mad_u64_u32 v[4:5], s[0:1], s3, v8, v[4:5]
	v_lshlrev_b64 v[2:3], 3, v[6:7]
	v_add_co_u32_e32 v2, vcc, v0, v2
	v_addc_co_u32_e32 v3, vcc, v1, v3, vcc
	v_mov_b32_e32 v12, v4
	global_store_dwordx2 v[2:3], v[13:14], off
	v_lshlrev_b64 v[2:3], 3, v[11:12]
	v_add_co_u32_e32 v0, vcc, v0, v2
	v_addc_co_u32_e32 v1, vcc, v1, v3, vcc
	global_store_dwordx2 v[0:1], v[9:10], off
.LBB0_26:
	s_endpgm
	.section	.rodata,"a",@progbits
	.p2align	6, 0x0
	.amdhsa_kernel fft_rtc_fwd_len2400_factors_4_10_10_6_wgs_240_tpt_240_halfLds_sp_ip_CI_sbrr_dirReg
		.amdhsa_group_segment_fixed_size 0
		.amdhsa_private_segment_fixed_size 0
		.amdhsa_kernarg_size 88
		.amdhsa_user_sgpr_count 6
		.amdhsa_user_sgpr_private_segment_buffer 1
		.amdhsa_user_sgpr_dispatch_ptr 0
		.amdhsa_user_sgpr_queue_ptr 0
		.amdhsa_user_sgpr_kernarg_segment_ptr 1
		.amdhsa_user_sgpr_dispatch_id 0
		.amdhsa_user_sgpr_flat_scratch_init 0
		.amdhsa_user_sgpr_private_segment_size 0
		.amdhsa_uses_dynamic_stack 0
		.amdhsa_system_sgpr_private_segment_wavefront_offset 0
		.amdhsa_system_sgpr_workgroup_id_x 1
		.amdhsa_system_sgpr_workgroup_id_y 0
		.amdhsa_system_sgpr_workgroup_id_z 0
		.amdhsa_system_sgpr_workgroup_info 0
		.amdhsa_system_vgpr_workitem_id 0
		.amdhsa_next_free_vgpr 60
		.amdhsa_next_free_sgpr 24
		.amdhsa_reserve_vcc 1
		.amdhsa_reserve_flat_scratch 0
		.amdhsa_float_round_mode_32 0
		.amdhsa_float_round_mode_16_64 0
		.amdhsa_float_denorm_mode_32 3
		.amdhsa_float_denorm_mode_16_64 3
		.amdhsa_dx10_clamp 1
		.amdhsa_ieee_mode 1
		.amdhsa_fp16_overflow 0
		.amdhsa_exception_fp_ieee_invalid_op 0
		.amdhsa_exception_fp_denorm_src 0
		.amdhsa_exception_fp_ieee_div_zero 0
		.amdhsa_exception_fp_ieee_overflow 0
		.amdhsa_exception_fp_ieee_underflow 0
		.amdhsa_exception_fp_ieee_inexact 0
		.amdhsa_exception_int_div_zero 0
	.end_amdhsa_kernel
	.text
.Lfunc_end0:
	.size	fft_rtc_fwd_len2400_factors_4_10_10_6_wgs_240_tpt_240_halfLds_sp_ip_CI_sbrr_dirReg, .Lfunc_end0-fft_rtc_fwd_len2400_factors_4_10_10_6_wgs_240_tpt_240_halfLds_sp_ip_CI_sbrr_dirReg
                                        ; -- End function
	.section	.AMDGPU.csdata,"",@progbits
; Kernel info:
; codeLenInByte = 7092
; NumSgprs: 28
; NumVgprs: 60
; ScratchSize: 0
; MemoryBound: 0
; FloatMode: 240
; IeeeMode: 1
; LDSByteSize: 0 bytes/workgroup (compile time only)
; SGPRBlocks: 3
; VGPRBlocks: 14
; NumSGPRsForWavesPerEU: 28
; NumVGPRsForWavesPerEU: 60
; Occupancy: 4
; WaveLimiterHint : 1
; COMPUTE_PGM_RSRC2:SCRATCH_EN: 0
; COMPUTE_PGM_RSRC2:USER_SGPR: 6
; COMPUTE_PGM_RSRC2:TRAP_HANDLER: 0
; COMPUTE_PGM_RSRC2:TGID_X_EN: 1
; COMPUTE_PGM_RSRC2:TGID_Y_EN: 0
; COMPUTE_PGM_RSRC2:TGID_Z_EN: 0
; COMPUTE_PGM_RSRC2:TIDIG_COMP_CNT: 0
	.type	__hip_cuid_2317d4439ac8fa5b,@object ; @__hip_cuid_2317d4439ac8fa5b
	.section	.bss,"aw",@nobits
	.globl	__hip_cuid_2317d4439ac8fa5b
__hip_cuid_2317d4439ac8fa5b:
	.byte	0                               ; 0x0
	.size	__hip_cuid_2317d4439ac8fa5b, 1

	.ident	"AMD clang version 19.0.0git (https://github.com/RadeonOpenCompute/llvm-project roc-6.4.0 25133 c7fe45cf4b819c5991fe208aaa96edf142730f1d)"
	.section	".note.GNU-stack","",@progbits
	.addrsig
	.addrsig_sym __hip_cuid_2317d4439ac8fa5b
	.amdgpu_metadata
---
amdhsa.kernels:
  - .args:
      - .actual_access:  read_only
        .address_space:  global
        .offset:         0
        .size:           8
        .value_kind:     global_buffer
      - .offset:         8
        .size:           8
        .value_kind:     by_value
      - .actual_access:  read_only
        .address_space:  global
        .offset:         16
        .size:           8
        .value_kind:     global_buffer
      - .actual_access:  read_only
        .address_space:  global
        .offset:         24
        .size:           8
        .value_kind:     global_buffer
      - .offset:         32
        .size:           8
        .value_kind:     by_value
      - .actual_access:  read_only
        .address_space:  global
        .offset:         40
        .size:           8
        .value_kind:     global_buffer
      - .actual_access:  read_only
        .address_space:  global
        .offset:         48
        .size:           8
        .value_kind:     global_buffer
      - .offset:         56
        .size:           4
        .value_kind:     by_value
      - .actual_access:  read_only
        .address_space:  global
        .offset:         64
        .size:           8
        .value_kind:     global_buffer
      - .actual_access:  read_only
        .address_space:  global
        .offset:         72
        .size:           8
        .value_kind:     global_buffer
      - .address_space:  global
        .offset:         80
        .size:           8
        .value_kind:     global_buffer
    .group_segment_fixed_size: 0
    .kernarg_segment_align: 8
    .kernarg_segment_size: 88
    .language:       OpenCL C
    .language_version:
      - 2
      - 0
    .max_flat_workgroup_size: 240
    .name:           fft_rtc_fwd_len2400_factors_4_10_10_6_wgs_240_tpt_240_halfLds_sp_ip_CI_sbrr_dirReg
    .private_segment_fixed_size: 0
    .sgpr_count:     28
    .sgpr_spill_count: 0
    .symbol:         fft_rtc_fwd_len2400_factors_4_10_10_6_wgs_240_tpt_240_halfLds_sp_ip_CI_sbrr_dirReg.kd
    .uniform_work_group_size: 1
    .uses_dynamic_stack: false
    .vgpr_count:     60
    .vgpr_spill_count: 0
    .wavefront_size: 64
amdhsa.target:   amdgcn-amd-amdhsa--gfx906
amdhsa.version:
  - 1
  - 2
...

	.end_amdgpu_metadata
